;; amdgpu-corpus repo=ROCm/rocFFT kind=compiled arch=gfx1201 opt=O3
	.text
	.amdgcn_target "amdgcn-amd-amdhsa--gfx1201"
	.amdhsa_code_object_version 6
	.protected	fft_rtc_back_len80_factors_10_8_wgs_160_tpt_10_sp_ip_CI_sbcc_dirReg ; -- Begin function fft_rtc_back_len80_factors_10_8_wgs_160_tpt_10_sp_ip_CI_sbcc_dirReg
	.globl	fft_rtc_back_len80_factors_10_8_wgs_160_tpt_10_sp_ip_CI_sbcc_dirReg
	.p2align	8
	.type	fft_rtc_back_len80_factors_10_8_wgs_160_tpt_10_sp_ip_CI_sbcc_dirReg,@function
fft_rtc_back_len80_factors_10_8_wgs_160_tpt_10_sp_ip_CI_sbcc_dirReg: ; @fft_rtc_back_len80_factors_10_8_wgs_160_tpt_10_sp_ip_CI_sbcc_dirReg
; %bb.0:
	s_load_b128 s[8:11], s[0:1], 0x18
	s_mov_b32 s18, ttmp9
	s_mov_b32 s19, 0
	s_mov_b64 s[24:25], 0
	s_wait_kmcnt 0x0
	s_load_b64 s[2:3], s[8:9], 0x8
	s_wait_kmcnt 0x0
	s_add_nc_u64 s[4:5], s[2:3], -1
	s_delay_alu instid0(SALU_CYCLE_1) | instskip(NEXT) | instid1(SALU_CYCLE_1)
	s_lshr_b64 s[4:5], s[4:5], 4
	s_add_nc_u64 s[16:17], s[4:5], 1
	s_delay_alu instid0(SALU_CYCLE_1) | instskip(NEXT) | instid1(VALU_DEP_1)
	v_cmp_lt_u64_e64 s4, s[18:19], s[16:17]
	s_and_b32 vcc_lo, exec_lo, s4
	s_cbranch_vccnz .LBB0_2
; %bb.1:
	v_cvt_f32_u32_e32 v1, s16
	s_sub_co_i32 s5, 0, s16
	s_mov_b32 s25, s19
	s_delay_alu instid0(VALU_DEP_1) | instskip(NEXT) | instid1(TRANS32_DEP_1)
	v_rcp_iflag_f32_e32 v1, v1
	v_mul_f32_e32 v1, 0x4f7ffffe, v1
	s_delay_alu instid0(VALU_DEP_1) | instskip(NEXT) | instid1(VALU_DEP_1)
	v_cvt_u32_f32_e32 v1, v1
	v_readfirstlane_b32 s4, v1
	s_delay_alu instid0(VALU_DEP_1) | instskip(NEXT) | instid1(SALU_CYCLE_1)
	s_mul_i32 s5, s5, s4
	s_mul_hi_u32 s5, s4, s5
	s_delay_alu instid0(SALU_CYCLE_1) | instskip(NEXT) | instid1(SALU_CYCLE_1)
	s_add_co_i32 s4, s4, s5
	s_mul_hi_u32 s4, s18, s4
	s_delay_alu instid0(SALU_CYCLE_1) | instskip(SKIP_2) | instid1(SALU_CYCLE_1)
	s_mul_i32 s5, s4, s16
	s_add_co_i32 s6, s4, 1
	s_sub_co_i32 s5, s18, s5
	s_sub_co_i32 s7, s5, s16
	s_cmp_ge_u32 s5, s16
	s_cselect_b32 s4, s6, s4
	s_cselect_b32 s5, s7, s5
	s_add_co_i32 s6, s4, 1
	s_cmp_ge_u32 s5, s16
	s_cselect_b32 s24, s6, s4
.LBB0_2:
	s_load_b64 s[22:23], s[0:1], 0x10
	s_load_b128 s[4:7], s[10:11], 0x0
	s_load_b64 s[12:13], s[0:1], 0x0
	s_mul_u64 s[14:15], s[24:25], s[16:17]
	s_delay_alu instid0(SALU_CYCLE_1) | instskip(NEXT) | instid1(SALU_CYCLE_1)
	s_sub_nc_u64 s[14:15], s[18:19], s[14:15]
	s_lshl_b64 s[14:15], s[14:15], 4
	s_wait_kmcnt 0x0
	v_cmp_lt_u64_e64 s20, s[22:23], 3
	s_delay_alu instid0(VALU_DEP_1)
	s_and_b32 vcc_lo, exec_lo, s20
	s_mul_u64 s[20:21], s[6:7], s[14:15]
	s_cbranch_vccnz .LBB0_12
; %bb.3:
	s_add_nc_u64 s[26:27], s[10:11], 16
	s_add_nc_u64 s[8:9], s[8:9], 16
	s_mov_b64 s[28:29], 2
	s_mov_b32 s30, 0
.LBB0_4:                                ; =>This Inner Loop Header: Depth=1
	s_load_b64 s[34:35], s[8:9], 0x0
                                        ; implicit-def: $sgpr38_sgpr39
	s_wait_kmcnt 0x0
	s_or_b64 s[36:37], s[24:25], s[34:35]
	s_delay_alu instid0(SALU_CYCLE_1)
	s_mov_b32 s31, s37
	s_mov_b32 s37, -1
	s_wait_alu 0xfffe
	s_cmp_lg_u64 s[30:31], 0
	s_cbranch_scc0 .LBB0_6
; %bb.5:                                ;   in Loop: Header=BB0_4 Depth=1
	s_cvt_f32_u32 s31, s34
	s_cvt_f32_u32 s33, s35
	s_sub_nc_u64 s[40:41], 0, s[34:35]
	s_mov_b32 s37, 0
	s_mov_b32 s45, s30
	s_wait_alu 0xfffe
	s_fmamk_f32 s31, s33, 0x4f800000, s31
	s_wait_alu 0xfffe
	s_delay_alu instid0(SALU_CYCLE_2) | instskip(NEXT) | instid1(TRANS32_DEP_1)
	v_s_rcp_f32 s31, s31
	s_mul_f32 s31, s31, 0x5f7ffffc
	s_wait_alu 0xfffe
	s_delay_alu instid0(SALU_CYCLE_2) | instskip(NEXT) | instid1(SALU_CYCLE_3)
	s_mul_f32 s33, s31, 0x2f800000
	s_trunc_f32 s33, s33
	s_delay_alu instid0(SALU_CYCLE_3) | instskip(SKIP_2) | instid1(SALU_CYCLE_1)
	s_fmamk_f32 s31, s33, 0xcf800000, s31
	s_cvt_u32_f32 s39, s33
	s_wait_alu 0xfffe
	s_cvt_u32_f32 s38, s31
	s_wait_alu 0xfffe
	s_delay_alu instid0(SALU_CYCLE_2)
	s_mul_u64 s[42:43], s[40:41], s[38:39]
	s_wait_alu 0xfffe
	s_mul_hi_u32 s47, s38, s43
	s_mul_i32 s46, s38, s43
	s_mul_hi_u32 s36, s38, s42
	s_mul_i32 s33, s39, s42
	s_add_nc_u64 s[46:47], s[36:37], s[46:47]
	s_mul_hi_u32 s31, s39, s42
	s_mul_hi_u32 s48, s39, s43
	s_add_co_u32 s33, s46, s33
	s_wait_alu 0xfffe
	s_add_co_ci_u32 s44, s47, s31
	s_mul_i32 s42, s39, s43
	s_add_co_ci_u32 s43, s48, 0
	s_wait_alu 0xfffe
	s_add_nc_u64 s[42:43], s[44:45], s[42:43]
	s_wait_alu 0xfffe
	v_add_co_u32 v1, s31, s38, s42
	s_delay_alu instid0(VALU_DEP_1) | instskip(SKIP_1) | instid1(VALU_DEP_1)
	s_cmp_lg_u32 s31, 0
	s_add_co_ci_u32 s39, s39, s43
	v_readfirstlane_b32 s38, v1
	s_mov_b32 s43, s30
	s_wait_alu 0xfffe
	s_delay_alu instid0(VALU_DEP_1)
	s_mul_u64 s[40:41], s[40:41], s[38:39]
	s_wait_alu 0xfffe
	s_mul_hi_u32 s45, s38, s41
	s_mul_i32 s44, s38, s41
	s_mul_hi_u32 s36, s38, s40
	s_mul_i32 s33, s39, s40
	s_add_nc_u64 s[44:45], s[36:37], s[44:45]
	s_mul_hi_u32 s31, s39, s40
	s_mul_hi_u32 s38, s39, s41
	s_add_co_u32 s33, s44, s33
	s_wait_alu 0xfffe
	s_add_co_ci_u32 s42, s45, s31
	s_mul_i32 s40, s39, s41
	s_add_co_ci_u32 s41, s38, 0
	s_wait_alu 0xfffe
	s_add_nc_u64 s[40:41], s[42:43], s[40:41]
	s_wait_alu 0xfffe
	v_add_co_u32 v1, s31, v1, s40
	s_delay_alu instid0(VALU_DEP_1) | instskip(SKIP_1) | instid1(VALU_DEP_1)
	s_cmp_lg_u32 s31, 0
	s_add_co_ci_u32 s31, s39, s41
	v_readfirstlane_b32 s33, v1
	s_wait_alu 0xfffe
	s_mul_hi_u32 s39, s24, s31
	s_mul_i32 s38, s24, s31
	s_mul_hi_u32 s41, s25, s31
	s_mul_i32 s40, s25, s31
	;; [unrolled: 2-line block ×3, first 2 shown]
	s_wait_alu 0xfffe
	s_add_nc_u64 s[38:39], s[36:37], s[38:39]
	s_mul_hi_u32 s33, s25, s33
	s_wait_alu 0xfffe
	s_add_co_u32 s31, s38, s31
	s_add_co_ci_u32 s42, s39, s33
	s_add_co_ci_u32 s41, s41, 0
	s_wait_alu 0xfffe
	s_add_nc_u64 s[38:39], s[42:43], s[40:41]
	s_wait_alu 0xfffe
	s_mul_u64 s[40:41], s[34:35], s[38:39]
	s_add_nc_u64 s[42:43], s[38:39], 1
	s_wait_alu 0xfffe
	v_sub_co_u32 v1, s31, s24, s40
	s_sub_co_i32 s33, s25, s41
	s_cmp_lg_u32 s31, 0
	s_add_nc_u64 s[44:45], s[38:39], 2
	s_delay_alu instid0(VALU_DEP_1) | instskip(SKIP_2) | instid1(VALU_DEP_1)
	v_sub_co_u32 v2, s36, v1, s34
	s_sub_co_ci_u32 s33, s33, s35
	s_cmp_lg_u32 s36, 0
	v_readfirstlane_b32 s36, v2
	s_sub_co_ci_u32 s33, s33, 0
	s_delay_alu instid0(SALU_CYCLE_1) | instskip(SKIP_1) | instid1(VALU_DEP_1)
	s_cmp_ge_u32 s33, s35
	s_cselect_b32 s40, -1, 0
	s_cmp_ge_u32 s36, s34
	s_cselect_b32 s36, -1, 0
	s_cmp_eq_u32 s33, s35
	s_wait_alu 0xfffe
	s_cselect_b32 s33, s36, s40
	s_delay_alu instid0(SALU_CYCLE_1)
	s_cmp_lg_u32 s33, 0
	s_cselect_b32 s33, s44, s42
	s_cselect_b32 s36, s45, s43
	s_cmp_lg_u32 s31, 0
	v_readfirstlane_b32 s31, v1
	s_sub_co_ci_u32 s40, s25, s41
	s_wait_alu 0xfffe
	s_cmp_ge_u32 s40, s35
	s_cselect_b32 s41, -1, 0
	s_cmp_ge_u32 s31, s34
	s_cselect_b32 s31, -1, 0
	s_cmp_eq_u32 s40, s35
	s_wait_alu 0xfffe
	s_cselect_b32 s31, s31, s41
	s_wait_alu 0xfffe
	s_cmp_lg_u32 s31, 0
	s_cselect_b32 s39, s36, s39
	s_cselect_b32 s38, s33, s38
.LBB0_6:                                ;   in Loop: Header=BB0_4 Depth=1
	s_and_not1_b32 vcc_lo, exec_lo, s37
	s_cbranch_vccnz .LBB0_8
; %bb.7:                                ;   in Loop: Header=BB0_4 Depth=1
	v_cvt_f32_u32_e32 v1, s34
	s_sub_co_i32 s33, 0, s34
	s_mov_b32 s39, s30
	s_delay_alu instid0(VALU_DEP_1) | instskip(NEXT) | instid1(TRANS32_DEP_1)
	v_rcp_iflag_f32_e32 v1, v1
	v_mul_f32_e32 v1, 0x4f7ffffe, v1
	s_delay_alu instid0(VALU_DEP_1) | instskip(NEXT) | instid1(VALU_DEP_1)
	v_cvt_u32_f32_e32 v1, v1
	v_readfirstlane_b32 s31, v1
	s_delay_alu instid0(VALU_DEP_1) | instskip(NEXT) | instid1(SALU_CYCLE_1)
	s_mul_i32 s33, s33, s31
	s_mul_hi_u32 s33, s31, s33
	s_delay_alu instid0(SALU_CYCLE_1)
	s_add_co_i32 s31, s31, s33
	s_wait_alu 0xfffe
	s_mul_hi_u32 s31, s24, s31
	s_wait_alu 0xfffe
	s_mul_i32 s33, s31, s34
	s_add_co_i32 s36, s31, 1
	s_sub_co_i32 s33, s24, s33
	s_delay_alu instid0(SALU_CYCLE_1)
	s_sub_co_i32 s37, s33, s34
	s_cmp_ge_u32 s33, s34
	s_cselect_b32 s31, s36, s31
	s_cselect_b32 s33, s37, s33
	s_wait_alu 0xfffe
	s_add_co_i32 s36, s31, 1
	s_cmp_ge_u32 s33, s34
	s_cselect_b32 s38, s36, s31
.LBB0_8:                                ;   in Loop: Header=BB0_4 Depth=1
	s_load_b64 s[36:37], s[26:27], 0x0
	s_add_nc_u64 s[28:29], s[28:29], 1
	s_mul_u64 s[16:17], s[34:35], s[16:17]
	s_wait_alu 0xfffe
	v_cmp_ge_u64_e64 s31, s[28:29], s[22:23]
	s_mul_u64 s[34:35], s[38:39], s[34:35]
	s_add_nc_u64 s[26:27], s[26:27], 8
	s_wait_alu 0xfffe
	s_sub_nc_u64 s[24:25], s[24:25], s[34:35]
	s_add_nc_u64 s[8:9], s[8:9], 8
	s_and_b32 vcc_lo, exec_lo, s31
	s_wait_kmcnt 0x0
	s_wait_alu 0xfffe
	s_mul_u64 s[24:25], s[36:37], s[24:25]
	s_wait_alu 0xfffe
	s_add_nc_u64 s[20:21], s[24:25], s[20:21]
	s_cbranch_vccnz .LBB0_10
; %bb.9:                                ;   in Loop: Header=BB0_4 Depth=1
	s_mov_b64 s[24:25], s[38:39]
	s_branch .LBB0_4
.LBB0_10:
	v_cmp_lt_u64_e64 s8, s[18:19], s[16:17]
	s_mov_b64 s[24:25], 0
	s_delay_alu instid0(VALU_DEP_1)
	s_and_b32 vcc_lo, exec_lo, s8
	s_cbranch_vccnz .LBB0_12
; %bb.11:
	v_cvt_f32_u32_e32 v1, s16
	s_sub_co_i32 s9, 0, s16
	s_mov_b32 s25, 0
	s_delay_alu instid0(VALU_DEP_1) | instskip(NEXT) | instid1(TRANS32_DEP_1)
	v_rcp_iflag_f32_e32 v1, v1
	v_mul_f32_e32 v1, 0x4f7ffffe, v1
	s_delay_alu instid0(VALU_DEP_1) | instskip(NEXT) | instid1(VALU_DEP_1)
	v_cvt_u32_f32_e32 v1, v1
	v_readfirstlane_b32 s8, v1
	s_delay_alu instid0(VALU_DEP_1) | instskip(NEXT) | instid1(SALU_CYCLE_1)
	s_mul_i32 s9, s9, s8
	s_mul_hi_u32 s9, s8, s9
	s_delay_alu instid0(SALU_CYCLE_1) | instskip(NEXT) | instid1(SALU_CYCLE_1)
	s_add_co_i32 s8, s8, s9
	s_mul_hi_u32 s8, s18, s8
	s_delay_alu instid0(SALU_CYCLE_1) | instskip(SKIP_2) | instid1(SALU_CYCLE_1)
	s_mul_i32 s9, s8, s16
	s_add_co_i32 s17, s8, 1
	s_sub_co_i32 s9, s18, s9
	s_sub_co_i32 s18, s9, s16
	s_cmp_ge_u32 s9, s16
	s_wait_alu 0xfffe
	s_cselect_b32 s8, s17, s8
	s_cselect_b32 s9, s18, s9
	s_add_co_i32 s17, s8, 1
	s_cmp_ge_u32 s9, s16
	s_wait_alu 0xfffe
	s_cselect_b32 s24, s17, s8
.LBB0_12:
	s_load_b64 s[8:9], s[0:1], 0x58
	s_lshl_b64 s[0:1], s[22:23], 3
	s_add_nc_u64 s[16:17], s[14:15], 16
	s_add_nc_u64 s[0:1], s[10:11], s[0:1]
	v_and_b32_e32 v23, 15, v0
	s_load_b64 s[10:11], s[0:1], 0x0
	v_cmp_le_u64_e64 s1, s[16:17], s[2:3]
	v_cmp_gt_u32_e64 s0, 0x80, v0
	v_cmp_gt_u64_e64 s16, s[16:17], s[2:3]
	v_lshrrev_b32_e32 v24, 4, v0
                                        ; implicit-def: $vgpr4
                                        ; implicit-def: $vgpr6
                                        ; implicit-def: $vgpr8
                                        ; implicit-def: $vgpr10
                                        ; implicit-def: $vgpr12
                                        ; implicit-def: $vgpr14
                                        ; implicit-def: $vgpr16
                                        ; implicit-def: $vgpr20
                                        ; implicit-def: $vgpr18
                                        ; implicit-def: $vgpr22
	s_delay_alu instid0(VALU_DEP_3) | instskip(SKIP_2) | instid1(SALU_CYCLE_1)
	s_and_b32 s18, s0, s1
	s_wait_kmcnt 0x0
	s_mul_u64 s[10:11], s[10:11], s[24:25]
	s_add_nc_u64 s[10:11], s[10:11], s[20:21]
	s_wait_alu 0xfffe
	s_and_saveexec_b32 s17, s18
	s_cbranch_execnz .LBB0_19
; %bb.13:
	s_wait_alu 0xfffe
	s_or_b32 exec_lo, exec_lo, s17
	v_or_b32_e32 v1, s14, v23
	s_and_not1_b32 vcc_lo, exec_lo, s16
	s_cbranch_vccz .LBB0_20
.LBB0_14:
	v_lshlrev_b32_e32 v25, 3, v23
	s_and_saveexec_b32 s14, s0
	s_cbranch_execz .LBB0_16
.LBB0_15:
	s_wait_loadcnt 0x2
	v_dual_add_f32 v28, v14, v22 :: v_dual_sub_f32 v37, v13, v21
	v_dual_add_f32 v2, v12, v16 :: v_dual_add_f32 v29, v13, v21
	s_wait_loadcnt 0x0
	v_sub_f32_e32 v32, v9, v19
	s_delay_alu instid0(VALU_DEP_3)
	v_fma_f32 v28, -0.5, v28, v6
	v_dual_sub_f32 v27, v18, v16 :: v_dual_sub_f32 v30, v7, v17
	v_fma_f32 v2, -0.5, v2, v4
	v_fma_f32 v33, -0.5, v29, v5
	v_sub_f32_e32 v29, v10, v20
	v_sub_f32_e32 v34, v10, v14
	v_dual_sub_f32 v35, v20, v22 :: v_dual_sub_f32 v38, v19, v21
	v_dual_fmamk_f32 v36, v32, 0xbf737871, v28 :: v_dual_sub_f32 v41, v11, v15
	v_dual_sub_f32 v26, v8, v12 :: v_dual_sub_f32 v31, v9, v13
	s_delay_alu instid0(VALU_DEP_3) | instskip(NEXT) | instid1(VALU_DEP_3)
	v_dual_fmamk_f32 v39, v29, 0x3f737871, v33 :: v_dual_add_f32 v34, v34, v35
	v_fmac_f32_e32 v36, 0xbf167918, v37
	v_dual_fmamk_f32 v35, v30, 0xbf737871, v2 :: v_dual_sub_f32 v42, v12, v8
	v_sub_f32_e32 v40, v14, v22
	v_dual_add_f32 v31, v31, v38 :: v_dual_add_f32 v26, v26, v27
	s_delay_alu instid0(VALU_DEP_3) | instskip(SKIP_1) | instid1(VALU_DEP_4)
	v_fmac_f32_e32 v35, 0xbf167918, v41
	v_add_f32_e32 v27, v8, v18
	v_fmac_f32_e32 v39, 0x3f167918, v40
	v_fmac_f32_e32 v36, 0x3e9e377a, v34
	v_sub_f32_e32 v43, v16, v18
	v_dual_fmac_f32 v35, 0x3e9e377a, v26 :: v_dual_add_f32 v44, v10, v20
	s_delay_alu instid0(VALU_DEP_4) | instskip(NEXT) | instid1(VALU_DEP_4)
	v_fmac_f32_e32 v39, 0x3e9e377a, v31
	v_dual_mul_f32 v38, 0xbf4f1bbd, v36 :: v_dual_sub_f32 v47, v14, v10
	v_fma_f32 v45, -0.5, v27, v4
	v_add_f32_e32 v42, v42, v43
	v_fma_f32 v43, -0.5, v44, v6
	s_delay_alu instid0(VALU_DEP_4) | instskip(SKIP_2) | instid1(VALU_DEP_3)
	v_fmac_f32_e32 v38, 0x3f167918, v39
	v_add_f32_e32 v46, v9, v19
	v_dual_sub_f32 v48, v22, v20 :: v_dual_sub_f32 v51, v21, v19
	v_dual_fmamk_f32 v44, v41, 0x3f737871, v45 :: v_dual_sub_f32 v27, v35, v38
	s_delay_alu instid0(VALU_DEP_3) | instskip(NEXT) | instid1(VALU_DEP_3)
	v_fma_f32 v46, -0.5, v46, v5
	v_add_f32_e32 v47, v47, v48
	v_fmamk_f32 v49, v37, 0x3f737871, v43
	v_sub_f32_e32 v50, v13, v9
	s_delay_alu instid0(VALU_DEP_4) | instskip(SKIP_1) | instid1(VALU_DEP_3)
	v_dual_fmac_f32 v43, 0xbf737871, v37 :: v_dual_fmamk_f32 v52, v40, 0xbf737871, v46
	v_fmac_f32_e32 v45, 0xbf737871, v41
	v_dual_fmac_f32 v49, 0xbf167918, v32 :: v_dual_add_f32 v48, v50, v51
	s_delay_alu instid0(VALU_DEP_3) | instskip(NEXT) | instid1(VALU_DEP_3)
	v_dual_fmac_f32 v43, 0x3f167918, v32 :: v_dual_fmac_f32 v52, 0x3f167918, v29
	v_fmac_f32_e32 v45, 0x3f167918, v30
	v_dual_fmac_f32 v33, 0xbf737871, v29 :: v_dual_add_f32 v4, v4, v8
	v_dual_fmac_f32 v28, 0x3f737871, v32 :: v_dual_add_f32 v5, v5, v9
	s_delay_alu instid0(VALU_DEP_2)
	v_dual_fmac_f32 v44, 0xbf167918, v30 :: v_dual_fmac_f32 v33, 0xbf167918, v40
	v_dual_fmac_f32 v49, 0x3e9e377a, v47 :: v_dual_fmac_f32 v52, 0x3e9e377a, v48
	v_fmac_f32_e32 v43, 0x3e9e377a, v47
	v_dual_fmac_f32 v45, 0x3e9e377a, v42 :: v_dual_add_f32 v4, v4, v12
	v_fmac_f32_e32 v2, 0x3f737871, v30
	v_add_f32_e32 v30, v11, v15
	v_sub_f32_e32 v12, v12, v16
	v_fmac_f32_e32 v28, 0x3f167918, v37
	v_mul_f32_e32 v36, 0xbf167918, v36
	v_fmac_f32_e32 v44, 0x3e9e377a, v42
	v_mul_f32_e32 v50, 0xbe9e377a, v49
	s_delay_alu instid0(VALU_DEP_4)
	v_dual_mul_f32 v47, 0x3e9e377a, v43 :: v_dual_fmac_f32 v28, 0x3e9e377a, v34
	v_fma_f32 v34, -0.5, v30, v3
	v_sub_f32_e32 v8, v8, v18
	v_fmac_f32_e32 v36, 0xbf4f1bbd, v39
	v_dual_mul_f32 v39, 0xbf737871, v49 :: v_dual_add_f32 v6, v6, v10
	v_fmac_f32_e32 v50, 0x3f737871, v52
	v_fmac_f32_e32 v46, 0x3f737871, v40
	v_fmamk_f32 v37, v8, 0x3f737871, v34
	v_add_f32_e32 v4, v4, v16
	v_add_f32_e32 v6, v6, v14
	v_dual_add_f32 v16, v7, v17 :: v_dual_fmac_f32 v39, 0xbe9e377a, v52
	v_fmac_f32_e32 v46, 0xbf167918, v29
	s_delay_alu instid0(VALU_DEP_3) | instskip(NEXT) | instid1(VALU_DEP_3)
	v_dual_fmac_f32 v37, 0x3f167918, v12 :: v_dual_add_f32 v6, v6, v22
	v_fma_f32 v22, -0.5, v16, v3
	v_add_f32_e32 v3, v3, v7
	v_sub_f32_e32 v14, v17, v15
	v_dual_add_f32 v5, v5, v13 :: v_dual_sub_f32 v10, v7, v11
	v_dual_fmac_f32 v46, 0x3e9e377a, v48 :: v_dual_fmac_f32 v33, 0x3e9e377a, v31
	s_delay_alu instid0(VALU_DEP_4) | instskip(NEXT) | instid1(VALU_DEP_3)
	v_dual_add_f32 v3, v3, v11 :: v_dual_fmac_f32 v2, 0x3f167918, v41
	v_dual_fmac_f32 v34, 0xbf737871, v8 :: v_dual_add_f32 v5, v5, v21
	s_delay_alu instid0(VALU_DEP_2) | instskip(NEXT) | instid1(VALU_DEP_3)
	v_dual_add_f32 v10, v10, v14 :: v_dual_add_f32 v3, v3, v15
	v_fmac_f32_e32 v2, 0x3e9e377a, v26
	v_sub_f32_e32 v14, v11, v7
	v_mul_f32_e32 v7, 0xbf737871, v43
	v_mul_f32_e32 v21, 0xbf167918, v28
	v_add_f32_e32 v3, v3, v17
	v_add_f32_e32 v11, v19, v5
	v_mul_f32_e32 v32, 0x3f167918, v33
	v_fmac_f32_e32 v7, 0x3e9e377a, v46
	v_fmac_f32_e32 v34, 0xbf167918, v12
	v_sub_f32_e32 v16, v15, v17
	v_fmac_f32_e32 v21, 0x3f4f1bbd, v33
	v_dual_sub_f32 v5, v3, v11 :: v_dual_fmac_f32 v32, 0x3f4f1bbd, v28
	s_delay_alu instid0(VALU_DEP_4)
	v_fmac_f32_e32 v34, 0x3e9e377a, v10
	v_fmamk_f32 v40, v12, 0xbf737871, v22
	v_fmac_f32_e32 v22, 0x3f737871, v12
	v_dual_add_f32 v20, v20, v6 :: v_dual_add_f32 v15, v3, v11
	v_add_f32_e32 v14, v14, v16
	v_mul_u32_u24_e32 v9, 0xa0, v24
	s_delay_alu instid0(VALU_DEP_4) | instskip(SKIP_3) | instid1(VALU_DEP_4)
	v_dual_fmac_f32 v22, 0xbf167918, v8 :: v_dual_sub_f32 v3, v34, v21
	v_fmac_f32_e32 v40, 0x3f167918, v8
	v_dual_add_f32 v18, v4, v18 :: v_dual_add_f32 v13, v34, v21
	v_sub_f32_e32 v4, v2, v32
	v_fmac_f32_e32 v22, 0x3e9e377a, v14
	s_delay_alu instid0(VALU_DEP_4) | instskip(SKIP_4) | instid1(VALU_DEP_3)
	v_fmac_f32_e32 v40, 0x3e9e377a, v14
	v_add_f32_e32 v14, v2, v32
	v_dual_fmac_f32 v47, 0x3f737871, v46 :: v_dual_lshlrev_b32 v2, 3, v9
	v_dual_fmac_f32 v37, 0x3e9e377a, v10 :: v_dual_add_f32 v16, v18, v20
	v_add_f32_e32 v10, v44, v50
	v_add3_u32 v2, 0, v2, v25
	s_delay_alu instid0(VALU_DEP_4)
	v_add_f32_e32 v12, v45, v47
	v_add_f32_e32 v9, v40, v39
	;; [unrolled: 1-line block ×3, first 2 shown]
	v_sub_f32_e32 v6, v18, v20
	v_sub_f32_e32 v30, v22, v7
	v_dual_add_f32 v8, v35, v38 :: v_dual_add_f32 v7, v37, v36
	v_sub_f32_e32 v31, v45, v47
	v_dual_sub_f32 v29, v44, v50 :: v_dual_sub_f32 v26, v37, v36
	v_sub_f32_e32 v28, v40, v39
	ds_store_2addr_b64 v2, v[15:16], v[13:14] offset1:16
	ds_store_2addr_b64 v2, v[11:12], v[9:10] offset0:32 offset1:48
	ds_store_2addr_b64 v2, v[7:8], v[5:6] offset0:64 offset1:80
	;; [unrolled: 1-line block ×4, first 2 shown]
.LBB0_16:
	s_wait_alu 0xfffe
	s_or_b32 exec_lo, exec_lo, s14
	v_mov_b32_e32 v2, s15
	global_wb scope:SCOPE_SE
	s_wait_loadcnt_dscnt 0x0
	s_barrier_signal -1
	s_barrier_wait -1
	global_inv scope:SCOPE_SE
	v_cmp_gt_u64_e32 vcc_lo, s[2:3], v[1:2]
	s_or_b32 s0, s1, vcc_lo
	s_delay_alu instid0(SALU_CYCLE_1)
	s_and_saveexec_b32 s1, s0
	s_cbranch_execz .LBB0_18
; %bb.17:
	v_mul_lo_u16 v1, v24, 26
	v_mad_co_u64_u32 v[31:32], null, s6, v23, 0
	v_mul_u32_u24_e32 v0, 0x19a, v0
	s_lshl_b64 s[0:1], s[10:11], 3
	s_delay_alu instid0(VALU_DEP_3) | instskip(SKIP_1) | instid1(VALU_DEP_2)
	v_lshrrev_b16 v1, 8, v1
	s_add_nc_u64 s[0:1], s[8:9], s[0:1]
	v_lshrrev_b32_e32 v14, 16, v0
	s_delay_alu instid0(VALU_DEP_4) | instskip(NEXT) | instid1(VALU_DEP_3)
	v_mov_b32_e32 v0, v32
	v_mul_lo_u16 v1, v1, 10
	s_delay_alu instid0(VALU_DEP_3) | instskip(NEXT) | instid1(VALU_DEP_2)
	v_mul_lo_u16 v20, 0x50, v14
	v_sub_nc_u16 v1, v24, v1
	s_delay_alu instid0(VALU_DEP_1) | instskip(NEXT) | instid1(VALU_DEP_1)
	v_and_b32_e32 v21, 0xff, v1
	v_mul_u32_u24_e32 v1, 7, v21
	s_delay_alu instid0(VALU_DEP_1)
	v_lshlrev_b32_e32 v13, 3, v1
	s_clause 0x3
	global_load_b128 v[1:4], v13, s[12:13] offset:16
	global_load_b128 v[5:8], v13, s[12:13]
	global_load_b128 v[9:12], v13, s[12:13] offset:32
	global_load_b64 v[29:30], v13, s[12:13] offset:48
	v_and_b32_e32 v22, 0xffff, v20
	s_delay_alu instid0(VALU_DEP_1) | instskip(NEXT) | instid1(VALU_DEP_1)
	v_or_b32_e32 v47, v22, v21
	v_add_nc_u32_e32 v52, 40, v47
	v_mad_co_u64_u32 v[33:34], null, s4, v47, 0
	v_lshlrev_b32_e32 v13, 7, v24
	v_add_nc_u32_e32 v50, 20, v47
	s_delay_alu instid0(VALU_DEP_4) | instskip(SKIP_1) | instid1(VALU_DEP_4)
	v_mad_co_u64_u32 v[39:40], null, s4, v52, 0
	v_add_nc_u32_e32 v51, 30, v47
	v_add3_u32 v19, 0, v13, v25
	s_delay_alu instid0(VALU_DEP_4) | instskip(SKIP_1) | instid1(VALU_DEP_4)
	v_mad_co_u64_u32 v[35:36], null, s4, v50, 0
	v_add_nc_u32_e32 v53, 50, v47
	v_mad_co_u64_u32 v[37:38], null, s4, v51, 0
	v_add_nc_u32_e32 v49, 10, v47
	ds_load_2addr_b64 v[13:16], v19 offset1:160
	v_add_nc_u32_e32 v25, 0x1c00, v19
	v_add_nc_u32_e32 v54, 60, v47
	v_mad_co_u64_u32 v[41:42], null, s4, v53, 0
	s_delay_alu instid0(VALU_DEP_2) | instskip(SKIP_4) | instid1(VALU_DEP_2)
	v_mad_co_u64_u32 v[43:44], null, s4, v54, 0
	v_add_nc_u32_e32 v55, 0x46, v47
	s_wait_loadcnt 0x3
	v_mad_co_u64_u32 v[17:18], null, s7, v23, v[0:1]
	v_add_nc_u32_e32 v0, 0x1400, v19
	v_mov_b32_e32 v32, v17
	s_delay_alu instid0(VALU_DEP_1) | instskip(NEXT) | instid1(VALU_DEP_1)
	v_lshlrev_b64_e32 v[31:32], 3, v[31:32]
	v_add_co_u32 v56, vcc_lo, s0, v31
	s_wait_alu 0xfffd
	s_delay_alu instid0(VALU_DEP_2)
	v_add_co_ci_u32_e32 v57, vcc_lo, s1, v32, vcc_lo
	v_mad_co_u64_u32 v[31:32], null, s4, v49, 0
	v_add_nc_u32_e32 v23, 0x800, v19
	ds_load_2addr_b64 v[17:20], v0 offset1:160
	v_mov_b32_e32 v0, v34
	v_mov_b32_e32 v34, v38
	v_mov_b32_e32 v38, v42
	s_delay_alu instid0(VALU_DEP_3)
	v_mad_co_u64_u32 v[47:48], null, s5, v47, v[0:1]
	v_mov_b32_e32 v0, v32
	v_mov_b32_e32 v32, v36
	ds_load_2addr_b64 v[21:24], v23 offset0:64 offset1:224
	ds_load_2addr_b64 v[25:28], v25 offset0:64 offset1:224
	v_mov_b32_e32 v36, v40
	v_mov_b32_e32 v40, v44
	v_mad_co_u64_u32 v[45:46], null, s4, v55, 0
	v_mad_co_u64_u32 v[48:49], null, s5, v49, v[0:1]
	;; [unrolled: 1-line block ×4, first 2 shown]
	s_delay_alu instid0(VALU_DEP_4)
	v_mov_b32_e32 v42, v46
	v_mov_b32_e32 v34, v47
	v_mad_co_u64_u32 v[46:47], null, s5, v54, v[40:41]
	s_wait_dscnt 0x2
	v_mul_f32_e32 v0, v4, v17
	v_mul_f32_e32 v4, v4, v18
	s_wait_loadcnt_dscnt 0x201
	v_mul_f32_e32 v47, v8, v22
	v_mul_f32_e32 v8, v8, v21
	v_fma_f32 v0, v3, v18, -v0
	v_fmac_f32_e32 v4, v3, v17
	s_delay_alu instid0(VALU_DEP_4)
	v_fmac_f32_e32 v47, v7, v21
	v_mad_co_u64_u32 v[51:52], null, s5, v52, v[36:37]
	v_mad_co_u64_u32 v[52:53], null, s5, v53, v[38:39]
	v_fma_f32 v3, v7, v22, -v8
	v_dual_mov_b32 v36, v49 :: v_dual_mul_f32 v49, v6, v15
	v_mul_f32_e32 v6, v6, v16
	v_dual_mov_b32 v40, v51 :: v_dual_mul_f32 v51, v2, v24
	v_sub_f32_e32 v7, v14, v0
	v_mul_f32_e32 v2, v2, v23
	s_delay_alu instid0(VALU_DEP_4)
	v_fmac_f32_e32 v6, v5, v15
	v_fma_f32 v16, v5, v16, -v49
	v_fmac_f32_e32 v51, v1, v23
	v_mad_co_u64_u32 v[53:54], null, s5, v55, v[42:43]
	v_mov_b32_e32 v42, v52
	s_wait_loadcnt_dscnt 0x0
	v_mul_f32_e32 v52, v28, v30
	v_mul_f32_e32 v30, v27, v30
	v_fma_f32 v2, v1, v24, -v2
	v_sub_f32_e32 v4, v13, v4
	v_fma_f32 v14, v14, 2.0, -v7
	v_fmac_f32_e32 v52, v27, v29
	v_mov_b32_e32 v32, v48
	v_mul_f32_e32 v48, v26, v12
	v_mul_f32_e32 v12, v12, v25
	v_fma_f32 v1, v28, v29, -v30
	s_delay_alu instid0(VALU_DEP_3) | instskip(NEXT) | instid1(VALU_DEP_3)
	v_fmac_f32_e32 v48, v11, v25
	v_fma_f32 v5, v26, v11, -v12
	s_delay_alu instid0(VALU_DEP_3) | instskip(SKIP_1) | instid1(VALU_DEP_4)
	v_dual_sub_f32 v11, v51, v52 :: v_dual_sub_f32 v12, v2, v1
	v_lshlrev_b64_e32 v[31:32], 3, v[31:32]
	v_sub_f32_e32 v8, v47, v48
	s_delay_alu instid0(VALU_DEP_4) | instskip(SKIP_2) | instid1(VALU_DEP_4)
	v_dual_mov_b32 v38, v50 :: v_dual_sub_f32 v5, v3, v5
	v_mov_b32_e32 v44, v46
	v_lshlrev_b64_e32 v[35:36], 3, v[35:36]
	v_sub_f32_e32 v15, v7, v8
	v_fma_f32 v8, v47, 2.0, -v8
	v_lshlrev_b64_e32 v[37:38], 3, v[37:38]
	s_delay_alu instid0(VALU_DEP_3) | instskip(SKIP_2) | instid1(VALU_DEP_2)
	v_fma_f32 v23, v7, 2.0, -v15
	v_mul_f32_e32 v50, v10, v19
	v_mul_f32_e32 v10, v10, v20
	v_fma_f32 v18, v9, v20, -v50
	s_delay_alu instid0(VALU_DEP_2) | instskip(SKIP_2) | instid1(VALU_DEP_4)
	v_dual_fmac_f32 v10, v9, v19 :: v_dual_add_f32 v19, v4, v5
	v_fma_f32 v5, v3, 2.0, -v5
	v_lshlrev_b64_e32 v[43:44], 3, v[43:44]
	v_sub_f32_e32 v9, v16, v18
	s_delay_alu instid0(VALU_DEP_4) | instskip(SKIP_2) | instid1(VALU_DEP_3)
	v_sub_f32_e32 v10, v6, v10
	v_lshlrev_b64_e32 v[33:34], 3, v[33:34]
	v_fma_f32 v24, v4, 2.0, -v19
	v_dual_sub_f32 v17, v9, v11 :: v_dual_add_f32 v18, v10, v12
	v_fma_f32 v20, v6, 2.0, -v10
	v_fma_f32 v6, v51, 2.0, -v11
	;; [unrolled: 1-line block ×5, first 2 shown]
	v_add_co_u32 v33, vcc_lo, v56, v33
	s_wait_alu 0xfffd
	v_add_co_ci_u32_e32 v34, vcc_lo, v57, v34, vcc_lo
	v_dual_mov_b32 v46, v53 :: v_dual_sub_f32 v21, v20, v6
	v_add_co_u32 v31, vcc_lo, v56, v31
	v_fmamk_f32 v3, v17, 0x3f3504f3, v15
	v_fmamk_f32 v2, v18, 0x3f3504f3, v19
	v_sub_f32_e32 v16, v14, v5
	v_sub_f32_e32 v22, v11, v8
	;; [unrolled: 1-line block ×3, first 2 shown]
	v_fma_f32 v10, v10, 2.0, -v18
	v_fma_f32 v12, v9, 2.0, -v17
	s_wait_alu 0xfffd
	v_add_co_ci_u32_e32 v32, vcc_lo, v57, v32, vcc_lo
	v_lshlrev_b64_e32 v[39:40], 3, v[39:40]
	v_add_co_u32 v35, vcc_lo, v56, v35
	s_wait_alu 0xfffd
	v_add_co_ci_u32_e32 v36, vcc_lo, v57, v36, vcc_lo
	v_fmac_f32_e32 v3, 0xbf3504f3, v18
	v_fmac_f32_e32 v2, 0x3f3504f3, v17
	v_fmamk_f32 v6, v10, 0xbf3504f3, v24
	v_fma_f32 v17, v14, 2.0, -v16
	v_fma_f32 v13, v13, 2.0, -v8
	;; [unrolled: 1-line block ×4, first 2 shown]
	v_lshlrev_b64_e32 v[41:42], 3, v[41:42]
	v_add_co_u32 v37, vcc_lo, v56, v37
	v_fmamk_f32 v7, v12, 0xbf3504f3, v23
	s_wait_alu 0xfffd
	v_add_co_ci_u32_e32 v38, vcc_lo, v57, v38, vcc_lo
	v_add_co_u32 v39, vcc_lo, v56, v39
	v_dual_sub_f32 v5, v16, v21 :: v_dual_fmac_f32 v6, 0x3f3504f3, v12
	v_dual_sub_f32 v13, v17, v13 :: v_dual_sub_f32 v12, v18, v14
	s_wait_alu 0xfffd
	v_add_co_ci_u32_e32 v40, vcc_lo, v57, v40, vcc_lo
	v_fmac_f32_e32 v7, 0xbf3504f3, v10
	v_lshlrev_b64_e32 v[45:46], 3, v[45:46]
	v_add_co_u32 v41, vcc_lo, v56, v41
	v_add_f32_e32 v4, v22, v8
	s_wait_alu 0xfffd
	v_add_co_ci_u32_e32 v42, vcc_lo, v57, v42, vcc_lo
	v_add_co_u32 v0, vcc_lo, v56, v43
	v_fma_f32 v11, v16, 2.0, -v5
	v_fma_f32 v17, v17, 2.0, -v13
	;; [unrolled: 1-line block ×6, first 2 shown]
	s_wait_alu 0xfffd
	v_add_co_ci_u32_e32 v1, vcc_lo, v57, v44, vcc_lo
	v_fma_f32 v10, v22, 2.0, -v4
	v_fma_f32 v8, v19, 2.0, -v2
	v_add_co_u32 v18, vcc_lo, v56, v45
	s_wait_alu 0xfffd
	v_add_co_ci_u32_e32 v19, vcc_lo, v57, v46, vcc_lo
	s_clause 0x7
	global_store_b64 v[33:34], v[16:17], off
	global_store_b64 v[31:32], v[14:15], off
	;; [unrolled: 1-line block ×8, first 2 shown]
.LBB0_18:
	s_nop 0
	s_sendmsg sendmsg(MSG_DEALLOC_VGPRS)
	s_endpgm
.LBB0_19:
	v_mad_co_u64_u32 v[1:2], null, s6, v23, 0
	v_mad_co_u64_u32 v[3:4], null, s4, v24, 0
	v_or_b32_e32 v10, 8, v24
	v_or_b32_e32 v11, 16, v24
	;; [unrolled: 1-line block ×3, first 2 shown]
	s_lshl_b64 s[18:19], s[10:11], 3
	v_or_b32_e32 v20, 48, v24
	v_mad_co_u64_u32 v[5:6], null, s4, v10, 0
	v_mad_co_u64_u32 v[7:8], null, s7, v23, v[2:3]
	s_wait_alu 0xfffe
	s_add_nc_u64 s[18:19], s[8:9], s[18:19]
	v_mad_co_u64_u32 v[15:16], null, s4, v20, 0
	v_or_b32_e32 v13, 32, v24
	s_delay_alu instid0(VALU_DEP_4) | instskip(SKIP_4) | instid1(VALU_DEP_4)
	v_mad_co_u64_u32 v[8:9], null, s5, v24, v[4:5]
	v_mov_b32_e32 v4, v6
	v_mov_b32_e32 v2, v7
	v_or_b32_e32 v25, 56, v24
	v_or_b32_e32 v28, 0x48, v24
	v_mad_co_u64_u32 v[6:7], null, s5, v10, v[4:5]
	v_mov_b32_e32 v4, v8
	v_mad_co_u64_u32 v[7:8], null, s4, v11, 0
	v_lshlrev_b64_e32 v[1:2], 3, v[1:2]
	v_mad_co_u64_u32 v[9:10], null, s4, v12, 0
	s_delay_alu instid0(VALU_DEP_4) | instskip(SKIP_2) | instid1(VALU_DEP_4)
	v_lshlrev_b64_e32 v[3:4], 3, v[3:4]
	v_lshlrev_b64_e32 v[5:6], 3, v[5:6]
	s_wait_alu 0xfffe
	v_add_co_u32 v22, vcc_lo, s18, v1
	v_add_co_ci_u32_e32 v29, vcc_lo, s19, v2, vcc_lo
	v_dual_mov_b32 v1, v8 :: v_dual_mov_b32 v2, v10
	s_delay_alu instid0(VALU_DEP_1) | instskip(SKIP_3) | instid1(VALU_DEP_4)
	v_mad_co_u64_u32 v[10:11], null, s5, v11, v[1:2]
	v_mad_co_u64_u32 v[1:2], null, s5, v12, v[2:3]
	;; [unrolled: 1-line block ×3, first 2 shown]
	v_add_co_u32 v2, vcc_lo, v22, v3
	v_mov_b32_e32 v8, v10
	s_wait_alu 0xfffd
	v_add_co_ci_u32_e32 v3, vcc_lo, v29, v4, vcc_lo
	s_delay_alu instid0(VALU_DEP_4) | instskip(SKIP_3) | instid1(VALU_DEP_4)
	v_dual_mov_b32 v10, v1 :: v_dual_mov_b32 v1, v12
	v_or_b32_e32 v4, 40, v24
	v_lshlrev_b64_e32 v[7:8], 3, v[7:8]
	v_add_co_u32 v5, vcc_lo, v22, v5
	v_mad_co_u64_u32 v[12:13], null, s5, v13, v[1:2]
	s_delay_alu instid0(VALU_DEP_4)
	v_mad_co_u64_u32 v[13:14], null, s4, v4, 0
	v_lshlrev_b64_e32 v[9:10], 3, v[9:10]
	s_wait_alu 0xfffd
	v_add_co_ci_u32_e32 v6, vcc_lo, v29, v6, vcc_lo
	v_add_co_u32 v7, vcc_lo, v22, v7
	s_wait_alu 0xfffd
	v_add_co_ci_u32_e32 v8, vcc_lo, v29, v8, vcc_lo
	v_mov_b32_e32 v1, v14
	v_add_co_u32 v9, vcc_lo, v22, v9
	s_wait_alu 0xfffd
	v_add_co_ci_u32_e32 v10, vcc_lo, v29, v10, vcc_lo
	s_delay_alu instid0(VALU_DEP_3)
	v_mad_co_u64_u32 v[17:18], null, s5, v4, v[1:2]
	s_clause 0x3
	global_load_b64 v[3:4], v[2:3], off
	global_load_b64 v[5:6], v[5:6], off
	;; [unrolled: 1-line block ×4, first 2 shown]
	v_mad_co_u64_u32 v[18:19], null, s4, v25, 0
	v_mov_b32_e32 v1, v16
	v_lshlrev_b64_e32 v[11:12], 3, v[11:12]
	v_mov_b32_e32 v14, v17
	v_or_b32_e32 v17, 64, v24
	s_delay_alu instid0(VALU_DEP_4) | instskip(SKIP_1) | instid1(VALU_DEP_4)
	v_mad_co_u64_u32 v[1:2], null, s5, v20, v[1:2]
	v_mov_b32_e32 v2, v19
	v_lshlrev_b64_e32 v[13:14], 3, v[13:14]
	s_delay_alu instid0(VALU_DEP_4)
	v_mad_co_u64_u32 v[20:21], null, s4, v17, 0
	v_add_co_u32 v11, vcc_lo, v22, v11
	v_mov_b32_e32 v16, v1
	s_wait_alu 0xfffd
	v_add_co_ci_u32_e32 v12, vcc_lo, v29, v12, vcc_lo
	v_add_co_u32 v13, vcc_lo, v22, v13
	s_delay_alu instid0(VALU_DEP_3)
	v_lshlrev_b64_e32 v[15:16], 3, v[15:16]
	s_wait_alu 0xfffd
	v_add_co_ci_u32_e32 v14, vcc_lo, v29, v14, vcc_lo
	s_wait_loadcnt 0x3
	v_mad_co_u64_u32 v[25:26], null, s5, v25, v[2:3]
	v_mad_co_u64_u32 v[26:27], null, s4, v28, 0
	s_delay_alu instid0(VALU_DEP_2) | instskip(NEXT) | instid1(VALU_DEP_1)
	v_dual_mov_b32 v2, v21 :: v_dual_mov_b32 v19, v25
	v_mad_co_u64_u32 v[1:2], null, s5, v17, v[2:3]
	s_delay_alu instid0(VALU_DEP_3) | instskip(NEXT) | instid1(VALU_DEP_3)
	v_mov_b32_e32 v2, v27
	v_lshlrev_b64_e32 v[17:18], 3, v[18:19]
	s_delay_alu instid0(VALU_DEP_2) | instskip(NEXT) | instid1(VALU_DEP_4)
	v_mad_co_u64_u32 v[27:28], null, s5, v28, v[2:3]
	v_mov_b32_e32 v21, v1
	v_add_co_u32 v1, vcc_lo, v22, v15
	s_wait_alu 0xfffd
	v_add_co_ci_u32_e32 v2, vcc_lo, v29, v16, vcc_lo
	s_delay_alu instid0(VALU_DEP_3) | instskip(SKIP_4) | instid1(VALU_DEP_4)
	v_lshlrev_b64_e32 v[15:16], 3, v[20:21]
	v_add_co_u32 v17, vcc_lo, v22, v17
	v_lshlrev_b64_e32 v[19:20], 3, v[26:27]
	s_wait_alu 0xfffd
	v_add_co_ci_u32_e32 v18, vcc_lo, v29, v18, vcc_lo
	v_add_co_u32 v25, vcc_lo, v22, v15
	s_wait_alu 0xfffd
	v_add_co_ci_u32_e32 v26, vcc_lo, v29, v16, vcc_lo
	v_add_co_u32 v19, vcc_lo, v22, v19
	s_wait_alu 0xfffd
	v_add_co_ci_u32_e32 v20, vcc_lo, v29, v20, vcc_lo
	s_clause 0x5
	global_load_b64 v[11:12], v[11:12], off
	global_load_b64 v[13:14], v[13:14], off
	;; [unrolled: 1-line block ×6, first 2 shown]
	s_or_b32 exec_lo, exec_lo, s17
	v_or_b32_e32 v1, s14, v23
	s_and_not1_b32 vcc_lo, exec_lo, s16
	s_wait_alu 0xfffe
	s_cbranch_vccnz .LBB0_14
.LBB0_20:
	v_mov_b32_e32 v2, s15
	s_delay_alu instid0(VALU_DEP_1)
	v_cmp_gt_u64_e32 vcc_lo, s[2:3], v[1:2]
	s_and_b32 s16, s0, vcc_lo
	s_wait_alu 0xfffe
	s_and_saveexec_b32 s14, s16
	s_cbranch_execz .LBB0_22
; %bb.21:
	v_mad_co_u64_u32 v[2:3], null, s6, v23, 0
	s_wait_loadcnt 0x8
	v_mad_co_u64_u32 v[4:5], null, s4, v24, 0
	s_wait_loadcnt 0x5
	v_or_b32_e32 v11, 8, v24
	v_or_b32_e32 v12, 16, v24
	s_wait_loadcnt 0x4
	v_or_b32_e32 v13, 24, v24
	s_lshl_b64 s[16:17], s[10:11], 3
	s_wait_loadcnt 0x2
	v_or_b32_e32 v21, 48, v24
	v_mad_co_u64_u32 v[6:7], null, s4, v11, 0
	v_mad_co_u64_u32 v[8:9], null, s7, v23, v[3:4]
	s_wait_alu 0xfffe
	s_add_nc_u64 s[16:17], s[8:9], s[16:17]
	s_wait_loadcnt 0x1
	v_mad_co_u64_u32 v[16:17], null, s4, v21, 0
	v_or_b32_e32 v14, 32, v24
	s_delay_alu instid0(VALU_DEP_4)
	v_mad_co_u64_u32 v[9:10], null, s5, v24, v[5:6]
	v_mov_b32_e32 v5, v7
	v_mov_b32_e32 v3, v8
	v_or_b32_e32 v18, 40, v24
	v_or_b32_e32 v25, 56, v24
	;; [unrolled: 1-line block ×3, first 2 shown]
	v_mad_co_u64_u32 v[7:8], null, s5, v11, v[5:6]
	v_mov_b32_e32 v5, v9
	v_mad_co_u64_u32 v[8:9], null, s4, v12, 0
	v_lshlrev_b64_e32 v[2:3], 3, v[2:3]
	v_mad_co_u64_u32 v[10:11], null, s4, v13, 0
	s_delay_alu instid0(VALU_DEP_4) | instskip(SKIP_2) | instid1(VALU_DEP_4)
	v_lshlrev_b64_e32 v[4:5], 3, v[4:5]
	v_lshlrev_b64_e32 v[6:7], 3, v[6:7]
	s_wait_alu 0xfffe
	v_add_co_u32 v30, vcc_lo, s16, v2
	s_wait_alu 0xfffd
	v_add_co_ci_u32_e32 v31, vcc_lo, s17, v3, vcc_lo
	v_dual_mov_b32 v2, v9 :: v_dual_mov_b32 v3, v11
	s_delay_alu instid0(VALU_DEP_1) | instskip(SKIP_3) | instid1(VALU_DEP_4)
	v_mad_co_u64_u32 v[11:12], null, s5, v12, v[2:3]
	v_mad_co_u64_u32 v[2:3], null, s5, v13, v[3:4]
	;; [unrolled: 1-line block ×3, first 2 shown]
	v_add_co_u32 v3, vcc_lo, v30, v4
	v_mov_b32_e32 v9, v11
	s_wait_alu 0xfffd
	v_add_co_ci_u32_e32 v4, vcc_lo, v31, v5, vcc_lo
	s_delay_alu instid0(VALU_DEP_4) | instskip(SKIP_3) | instid1(VALU_DEP_3)
	v_dual_mov_b32 v11, v2 :: v_dual_mov_b32 v2, v13
	v_add_co_u32 v5, vcc_lo, v30, v6
	s_wait_alu 0xfffd
	v_add_co_ci_u32_e32 v6, vcc_lo, v31, v7, vcc_lo
	v_mad_co_u64_u32 v[13:14], null, s5, v14, v[2:3]
	v_lshlrev_b64_e32 v[7:8], 3, v[8:9]
	v_mad_co_u64_u32 v[14:15], null, s4, v18, 0
	v_lshlrev_b64_e32 v[9:10], 3, v[10:11]
	s_delay_alu instid0(VALU_DEP_3) | instskip(SKIP_1) | instid1(VALU_DEP_4)
	v_add_co_u32 v7, vcc_lo, v30, v7
	s_wait_alu 0xfffd
	v_add_co_ci_u32_e32 v8, vcc_lo, v31, v8, vcc_lo
	s_delay_alu instid0(VALU_DEP_4) | instskip(NEXT) | instid1(VALU_DEP_4)
	v_mov_b32_e32 v2, v15
	v_add_co_u32 v9, vcc_lo, v30, v9
	s_wait_alu 0xfffd
	v_add_co_ci_u32_e32 v10, vcc_lo, v31, v10, vcc_lo
	s_wait_loadcnt 0x0
	v_mad_co_u64_u32 v[18:19], null, s5, v18, v[2:3]
	s_clause 0x3
	global_load_b64 v[3:4], v[3:4], off
	global_load_b64 v[5:6], v[5:6], off
	;; [unrolled: 1-line block ×4, first 2 shown]
	v_mad_co_u64_u32 v[19:20], null, s4, v25, 0
	v_mov_b32_e32 v2, v17
	v_lshlrev_b64_e32 v[11:12], 3, v[12:13]
	v_mov_b32_e32 v15, v18
	s_delay_alu instid0(VALU_DEP_2) | instskip(SKIP_1) | instid1(VALU_DEP_3)
	v_add_co_u32 v11, vcc_lo, v30, v11
	s_wait_alu 0xfffd
	v_add_co_ci_u32_e32 v12, vcc_lo, v31, v12, vcc_lo
	s_wait_loadcnt 0x3
	v_mad_co_u64_u32 v[17:18], null, s5, v21, v[2:3]
	v_mov_b32_e32 v2, v20
	v_or_b32_e32 v18, 0x48, v24
	v_mad_co_u64_u32 v[21:22], null, s4, v28, 0
	s_delay_alu instid0(VALU_DEP_3) | instskip(NEXT) | instid1(VALU_DEP_3)
	v_mad_co_u64_u32 v[25:26], null, s5, v25, v[2:3]
	v_mad_co_u64_u32 v[26:27], null, s4, v18, 0
	s_delay_alu instid0(VALU_DEP_3) | instskip(NEXT) | instid1(VALU_DEP_3)
	v_mov_b32_e32 v2, v22
	v_mov_b32_e32 v20, v25
	v_lshlrev_b64_e32 v[13:14], 3, v[14:15]
	s_delay_alu instid0(VALU_DEP_3) | instskip(SKIP_2) | instid1(VALU_DEP_4)
	v_mad_co_u64_u32 v[28:29], null, s5, v28, v[2:3]
	v_mov_b32_e32 v2, v27
	v_lshlrev_b64_e32 v[15:16], 3, v[16:17]
	v_add_co_u32 v13, vcc_lo, v30, v13
	s_delay_alu instid0(VALU_DEP_3)
	v_mad_co_u64_u32 v[17:18], null, s5, v18, v[2:3]
	v_mov_b32_e32 v22, v28
	v_lshlrev_b64_e32 v[18:19], 3, v[19:20]
	s_wait_alu 0xfffd
	v_add_co_ci_u32_e32 v14, vcc_lo, v31, v14, vcc_lo
	v_add_co_u32 v15, vcc_lo, v30, v15
	v_mov_b32_e32 v27, v17
	v_lshlrev_b64_e32 v[20:21], 3, v[21:22]
	s_wait_alu 0xfffd
	v_add_co_ci_u32_e32 v16, vcc_lo, v31, v16, vcc_lo
	v_add_co_u32 v17, vcc_lo, v30, v18
	v_lshlrev_b64_e32 v[25:26], 3, v[26:27]
	s_wait_alu 0xfffd
	v_add_co_ci_u32_e32 v18, vcc_lo, v31, v19, vcc_lo
	v_add_co_u32 v19, vcc_lo, v30, v20
	s_wait_alu 0xfffd
	v_add_co_ci_u32_e32 v20, vcc_lo, v31, v21, vcc_lo
	v_add_co_u32 v25, vcc_lo, v30, v25
	s_wait_alu 0xfffd
	v_add_co_ci_u32_e32 v26, vcc_lo, v31, v26, vcc_lo
	s_clause 0x5
	global_load_b64 v[11:12], v[11:12], off
	global_load_b64 v[13:14], v[13:14], off
	;; [unrolled: 1-line block ×6, first 2 shown]
.LBB0_22:
	s_wait_alu 0xfffe
	s_or_b32 exec_lo, exec_lo, s14
	v_lshlrev_b32_e32 v25, 3, v23
	s_and_saveexec_b32 s14, s0
	s_cbranch_execnz .LBB0_15
	s_branch .LBB0_16
	.section	.rodata,"a",@progbits
	.p2align	6, 0x0
	.amdhsa_kernel fft_rtc_back_len80_factors_10_8_wgs_160_tpt_10_sp_ip_CI_sbcc_dirReg
		.amdhsa_group_segment_fixed_size 0
		.amdhsa_private_segment_fixed_size 0
		.amdhsa_kernarg_size 96
		.amdhsa_user_sgpr_count 2
		.amdhsa_user_sgpr_dispatch_ptr 0
		.amdhsa_user_sgpr_queue_ptr 0
		.amdhsa_user_sgpr_kernarg_segment_ptr 1
		.amdhsa_user_sgpr_dispatch_id 0
		.amdhsa_user_sgpr_private_segment_size 0
		.amdhsa_wavefront_size32 1
		.amdhsa_uses_dynamic_stack 0
		.amdhsa_enable_private_segment 0
		.amdhsa_system_sgpr_workgroup_id_x 1
		.amdhsa_system_sgpr_workgroup_id_y 0
		.amdhsa_system_sgpr_workgroup_id_z 0
		.amdhsa_system_sgpr_workgroup_info 0
		.amdhsa_system_vgpr_workitem_id 0
		.amdhsa_next_free_vgpr 58
		.amdhsa_next_free_sgpr 49
		.amdhsa_reserve_vcc 1
		.amdhsa_float_round_mode_32 0
		.amdhsa_float_round_mode_16_64 0
		.amdhsa_float_denorm_mode_32 3
		.amdhsa_float_denorm_mode_16_64 3
		.amdhsa_fp16_overflow 0
		.amdhsa_workgroup_processor_mode 1
		.amdhsa_memory_ordered 1
		.amdhsa_forward_progress 0
		.amdhsa_round_robin_scheduling 0
		.amdhsa_exception_fp_ieee_invalid_op 0
		.amdhsa_exception_fp_denorm_src 0
		.amdhsa_exception_fp_ieee_div_zero 0
		.amdhsa_exception_fp_ieee_overflow 0
		.amdhsa_exception_fp_ieee_underflow 0
		.amdhsa_exception_fp_ieee_inexact 0
		.amdhsa_exception_int_div_zero 0
	.end_amdhsa_kernel
	.text
.Lfunc_end0:
	.size	fft_rtc_back_len80_factors_10_8_wgs_160_tpt_10_sp_ip_CI_sbcc_dirReg, .Lfunc_end0-fft_rtc_back_len80_factors_10_8_wgs_160_tpt_10_sp_ip_CI_sbcc_dirReg
                                        ; -- End function
	.section	.AMDGPU.csdata,"",@progbits
; Kernel info:
; codeLenInByte = 5204
; NumSgprs: 51
; NumVgprs: 58
; ScratchSize: 0
; MemoryBound: 0
; FloatMode: 240
; IeeeMode: 1
; LDSByteSize: 0 bytes/workgroup (compile time only)
; SGPRBlocks: 6
; VGPRBlocks: 7
; NumSGPRsForWavesPerEU: 51
; NumVGPRsForWavesPerEU: 58
; Occupancy: 15
; WaveLimiterHint : 1
; COMPUTE_PGM_RSRC2:SCRATCH_EN: 0
; COMPUTE_PGM_RSRC2:USER_SGPR: 2
; COMPUTE_PGM_RSRC2:TRAP_HANDLER: 0
; COMPUTE_PGM_RSRC2:TGID_X_EN: 1
; COMPUTE_PGM_RSRC2:TGID_Y_EN: 0
; COMPUTE_PGM_RSRC2:TGID_Z_EN: 0
; COMPUTE_PGM_RSRC2:TIDIG_COMP_CNT: 0
	.text
	.p2alignl 7, 3214868480
	.fill 96, 4, 3214868480
	.type	__hip_cuid_1d168e4f5cc99edb,@object ; @__hip_cuid_1d168e4f5cc99edb
	.section	.bss,"aw",@nobits
	.globl	__hip_cuid_1d168e4f5cc99edb
__hip_cuid_1d168e4f5cc99edb:
	.byte	0                               ; 0x0
	.size	__hip_cuid_1d168e4f5cc99edb, 1

	.ident	"AMD clang version 19.0.0git (https://github.com/RadeonOpenCompute/llvm-project roc-6.4.0 25133 c7fe45cf4b819c5991fe208aaa96edf142730f1d)"
	.section	".note.GNU-stack","",@progbits
	.addrsig
	.addrsig_sym __hip_cuid_1d168e4f5cc99edb
	.amdgpu_metadata
---
amdhsa.kernels:
  - .args:
      - .actual_access:  read_only
        .address_space:  global
        .offset:         0
        .size:           8
        .value_kind:     global_buffer
      - .address_space:  global
        .offset:         8
        .size:           8
        .value_kind:     global_buffer
      - .offset:         16
        .size:           8
        .value_kind:     by_value
      - .actual_access:  read_only
        .address_space:  global
        .offset:         24
        .size:           8
        .value_kind:     global_buffer
      - .actual_access:  read_only
        .address_space:  global
        .offset:         32
        .size:           8
        .value_kind:     global_buffer
      - .offset:         40
        .size:           8
        .value_kind:     by_value
      - .actual_access:  read_only
        .address_space:  global
        .offset:         48
        .size:           8
        .value_kind:     global_buffer
      - .actual_access:  read_only
        .address_space:  global
        .offset:         56
        .size:           8
        .value_kind:     global_buffer
      - .offset:         64
        .size:           4
        .value_kind:     by_value
      - .actual_access:  read_only
        .address_space:  global
        .offset:         72
        .size:           8
        .value_kind:     global_buffer
      - .actual_access:  read_only
        .address_space:  global
        .offset:         80
        .size:           8
        .value_kind:     global_buffer
      - .address_space:  global
        .offset:         88
        .size:           8
        .value_kind:     global_buffer
    .group_segment_fixed_size: 0
    .kernarg_segment_align: 8
    .kernarg_segment_size: 96
    .language:       OpenCL C
    .language_version:
      - 2
      - 0
    .max_flat_workgroup_size: 160
    .name:           fft_rtc_back_len80_factors_10_8_wgs_160_tpt_10_sp_ip_CI_sbcc_dirReg
    .private_segment_fixed_size: 0
    .sgpr_count:     51
    .sgpr_spill_count: 0
    .symbol:         fft_rtc_back_len80_factors_10_8_wgs_160_tpt_10_sp_ip_CI_sbcc_dirReg.kd
    .uniform_work_group_size: 1
    .uses_dynamic_stack: false
    .vgpr_count:     58
    .vgpr_spill_count: 0
    .wavefront_size: 32
    .workgroup_processor_mode: 1
amdhsa.target:   amdgcn-amd-amdhsa--gfx1201
amdhsa.version:
  - 1
  - 2
...

	.end_amdgpu_metadata
